;; amdgpu-corpus repo=ROCm/rocFFT kind=compiled arch=gfx950 opt=O3
	.text
	.amdgcn_target "amdgcn-amd-amdhsa--gfx950"
	.amdhsa_code_object_version 6
	.protected	bluestein_single_fwd_len200_dim1_sp_op_CI_CI ; -- Begin function bluestein_single_fwd_len200_dim1_sp_op_CI_CI
	.globl	bluestein_single_fwd_len200_dim1_sp_op_CI_CI
	.p2align	8
	.type	bluestein_single_fwd_len200_dim1_sp_op_CI_CI,@function
bluestein_single_fwd_len200_dim1_sp_op_CI_CI: ; @bluestein_single_fwd_len200_dim1_sp_op_CI_CI
; %bb.0:
	s_load_dwordx4 s[16:19], s[0:1], 0x28
	v_mul_u32_u24_e32 v1, 0xccd, v0
	v_lshrrev_b32_e32 v2, 16, v1
	v_mad_u64_u32 v[18:19], s[2:3], s2, 3, v[2:3]
	v_mov_b32_e32 v19, 0
	s_waitcnt lgkmcnt(0)
	v_cmp_gt_u64_e32 vcc, s[16:17], v[18:19]
	s_and_saveexec_b64 s[2:3], vcc
	s_cbranch_execz .LBB0_2
; %bb.1:
	s_load_dwordx4 s[4:7], s[0:1], 0x18
	s_load_dwordx4 s[8:11], s[0:1], 0x0
	v_mul_lo_u16_e32 v1, 20, v2
	v_sub_u16_e32 v55, v0, v1
	v_mov_b32_e32 v4, s18
	s_waitcnt lgkmcnt(0)
	s_load_dwordx4 s[12:15], s[4:5], 0x0
	v_mov_b32_e32 v5, s19
	v_mov_b32_e32 v19, 0xa0
	v_lshlrev_b32_e32 v59, 3, v55
	v_or_b32_e32 v51, 0xa0, v55
	s_waitcnt lgkmcnt(0)
	v_mad_u64_u32 v[0:1], s[2:3], s14, v18, 0
	v_mov_b32_e32 v2, v1
	v_mad_u64_u32 v[2:3], s[2:3], s15, v18, v[2:3]
	v_mov_b32_e32 v1, v2
	v_mad_u64_u32 v[2:3], s[2:3], s12, v55, 0
	v_mov_b32_e32 v6, v3
	v_mad_u64_u32 v[6:7], s[2:3], s13, v55, v[6:7]
	v_mov_b32_e32 v3, v6
	v_lshl_add_u64 v[0:1], v[0:1], 3, v[4:5]
	v_lshl_add_u64 v[2:3], v[2:3], 3, v[0:1]
	global_load_dwordx2 v[4:5], v[2:3], off
	v_mad_u64_u32 v[2:3], s[2:3], s12, v19, v[2:3]
	s_mul_i32 s4, s13, 0xa0
	v_add_u32_e32 v3, s4, v3
	v_mad_u64_u32 v[6:7], s[2:3], s12, v19, v[2:3]
	v_add_u32_e32 v7, s4, v7
	v_mad_u64_u32 v[8:9], s[2:3], s12, v19, v[6:7]
	;; [unrolled: 2-line block ×3, first 2 shown]
	v_add_u32_e32 v11, s4, v11
	global_load_dwordx2 v[36:37], v59, s[8:9]
	global_load_dwordx2 v[34:35], v59, s[8:9] offset:160
	global_load_dwordx2 v[28:29], v59, s[8:9] offset:320
	;; [unrolled: 1-line block ×3, first 2 shown]
	global_load_dwordx2 v[12:13], v[2:3], off
	global_load_dwordx2 v[14:15], v[6:7], off
	;; [unrolled: 1-line block ×4, first 2 shown]
	v_mad_u64_u32 v[2:3], s[2:3], s12, v19, v[10:11]
	v_add_u32_e32 v3, s4, v3
	global_load_dwordx2 v[6:7], v[2:3], off
	v_mad_u64_u32 v[2:3], s[2:3], s12, v19, v[2:3]
	v_add_u32_e32 v3, s4, v3
	v_mad_u64_u32 v[16:17], s[2:3], s12, v51, 0
	global_load_dwordx2 v[8:9], v[2:3], off
	v_mad_u64_u32 v[2:3], s[2:3], s12, v19, v[2:3]
	global_load_dwordx2 v[32:33], v59, s[8:9] offset:640
	v_mov_b32_e32 v22, v17
	v_add_u32_e32 v3, s4, v3
	v_mad_u64_u32 v[22:23], s[2:3], s13, v51, v[22:23]
	global_load_dwordx2 v[10:11], v[2:3], off
	global_load_dwordx2 v[30:31], v59, s[8:9] offset:800
	global_load_dwordx2 v[24:25], v59, s[8:9] offset:960
	;; [unrolled: 1-line block ×3, first 2 shown]
	v_mov_b32_e32 v17, v22
	v_lshl_add_u64 v[0:1], v[16:17], 3, v[0:1]
	v_mov_b32_e32 v49, 0x140
	global_load_dwordx2 v[0:1], v[0:1], off
	v_mad_u64_u32 v[2:3], s[2:3], s12, v49, v[2:3]
	global_load_dwordx2 v[22:23], v59, s[8:9] offset:1280
	s_mul_i32 s2, s13, 0x140
	v_add_u32_e32 v3, s2, v3
	global_load_dwordx2 v[16:17], v59, s[8:9] offset:1440
	global_load_dwordx2 v[44:45], v[2:3], off
	s_mov_b32 s2, 0xaaaaaaab
	v_mul_hi_u32 v2, v18, s2
	v_lshrrev_b32_e32 v2, 1, v2
	v_lshl_add_u32 v2, v2, 1, v2
	v_sub_u32_e32 v2, v18, v2
	v_mul_u32_u24_e32 v2, 0xc8, v2
	v_lshlrev_b32_e32 v38, 3, v2
	v_add_u32_e32 v57, v59, v38
	s_load_dwordx4 s[4:7], s[6:7], 0x0
	s_mov_b32 s14, 0x3f737871
	s_mov_b32 s2, 0x3f167918
	;; [unrolled: 1-line block ×8, first 2 shown]
	v_cmp_gt_u16_e32 vcc, 10, v55
	v_mov_b32_e32 v58, 0x64
	s_load_dwordx2 s[0:1], s[0:1], 0x38
	s_waitcnt vmcnt(18)
	v_mul_f32_e32 v2, v5, v37
	v_mul_f32_e32 v3, v4, v37
	v_fmac_f32_e32 v2, v4, v36
	v_fma_f32 v3, v5, v36, -v3
	s_waitcnt vmcnt(14)
	v_mul_f32_e32 v4, v13, v35
	v_mul_f32_e32 v5, v12, v35
	v_fmac_f32_e32 v4, v12, v34
	v_fma_f32 v5, v13, v34, -v5
	ds_write2_b64 v57, v[2:3], v[4:5] offset1:20
	s_waitcnt vmcnt(13)
	v_mul_f32_e32 v2, v15, v29
	v_mul_f32_e32 v3, v14, v29
	s_waitcnt vmcnt(12)
	v_mul_f32_e32 v4, v41, v27
	v_mul_f32_e32 v5, v40, v27
	v_fmac_f32_e32 v2, v14, v28
	v_fma_f32 v3, v15, v28, -v3
	v_fmac_f32_e32 v4, v40, v26
	v_fma_f32 v5, v41, v26, -v5
	ds_write2_b64 v57, v[2:3], v[4:5] offset0:40 offset1:60
	s_waitcnt vmcnt(8)
	v_mul_f32_e32 v2, v43, v33
	v_mul_f32_e32 v3, v42, v33
	s_waitcnt vmcnt(6)
	v_mul_f32_e32 v4, v7, v31
	v_mul_f32_e32 v5, v6, v31
	v_fmac_f32_e32 v2, v42, v32
	v_fma_f32 v3, v43, v32, -v3
	v_fmac_f32_e32 v4, v6, v30
	v_fma_f32 v5, v7, v30, -v5
	ds_write2_b64 v57, v[2:3], v[4:5] offset0:80 offset1:100
	;; [unrolled: 11-line block ×3, first 2 shown]
	s_waitcnt vmcnt(2)
	v_mul_f32_e32 v2, v1, v23
	v_fmac_f32_e32 v2, v0, v22
	v_mul_f32_e32 v0, v0, v23
	v_fma_f32 v3, v1, v22, -v0
	s_waitcnt vmcnt(0)
	v_mul_f32_e32 v0, v45, v17
	v_mul_f32_e32 v1, v44, v17
	v_fmac_f32_e32 v0, v44, v16
	v_fma_f32 v1, v45, v16, -v1
	ds_write2_b64 v57, v[2:3], v[0:1] offset0:160 offset1:180
	s_waitcnt lgkmcnt(0)
	; wave barrier
	s_waitcnt lgkmcnt(0)
	ds_read2_b64 v[0:3], v57 offset1:20
	ds_read2_b64 v[4:7], v57 offset0:40 offset1:60
	ds_read2_b64 v[8:11], v57 offset0:160 offset1:180
	;; [unrolled: 1-line block ×4, first 2 shown]
	s_waitcnt lgkmcnt(0)
	v_pk_add_f32 v[44:45], v[0:1], v[4:5]
	v_pk_add_f32 v[46:47], v[2:3], v[6:7]
	;; [unrolled: 1-line block ×4, first 2 shown]
	v_pk_add_f32 v[52:53], v[4:5], v[8:9] neg_lo:[0,1] neg_hi:[0,1]
	v_pk_add_f32 v[60:61], v[4:5], v[12:13] neg_lo:[0,1] neg_hi:[0,1]
	v_pk_add_f32 v[64:65], v[6:7], v[10:11] neg_lo:[0,1] neg_hi:[0,1]
	v_pk_add_f32 v[66:67], v[6:7], v[10:11]
	v_pk_add_f32 v[68:69], v[14:15], v[6:7] neg_lo:[0,1] neg_hi:[0,1]
	v_pk_add_f32 v[6:7], v[6:7], v[14:15] neg_lo:[0,1] neg_hi:[0,1]
	v_pk_add_f32 v[70:71], v[12:13], v[40:41]
	v_pk_add_f32 v[72:73], v[14:15], v[42:43] neg_lo:[0,1] neg_hi:[0,1]
	v_pk_add_f32 v[14:15], v[14:15], v[42:43]
	v_pk_add_f32 v[44:45], v[44:45], v[40:41]
	v_pk_add_f32 v[46:47], v[46:47], v[42:43]
	v_pk_add_f32 v[74:75], v[8:9], v[40:41] neg_lo:[0,1] neg_hi:[0,1]
	v_pk_add_f32 v[62:63], v[4:5], v[8:9]
	v_pk_add_f32 v[4:5], v[12:13], v[4:5] neg_lo:[0,1] neg_hi:[0,1]
	v_pk_add_f32 v[12:13], v[12:13], v[40:41] neg_lo:[0,1] neg_hi:[0,1]
	;; [unrolled: 1-line block ×5, first 2 shown]
	v_pk_add_f32 v[8:9], v[44:45], v[8:9]
	v_pk_add_f32 v[10:11], v[46:47], v[10:11]
	v_pk_fma_f32 v[44:45], v[70:71], 0.5, v[0:1] op_sel_hi:[1,0,1] neg_lo:[1,0,0] neg_hi:[1,0,0]
	v_pk_fma_f32 v[46:47], v[66:67], 0.5, v[2:3] op_sel_hi:[1,0,1] neg_lo:[1,0,0] neg_hi:[1,0,0]
	;; [unrolled: 1-line block ×3, first 2 shown]
	v_pk_add_f32 v[14:15], v[60:61], v[74:75]
	v_pk_mul_f32 v[60:61], v[52:53], s[14:15] op_sel_hi:[1,0]
	v_pk_fma_f32 v[0:1], v[62:63], 0.5, v[0:1] op_sel_hi:[1,0,1] neg_lo:[1,0,0] neg_hi:[1,0,0]
	v_pk_add_f32 v[62:63], v[44:45], v[60:61] op_sel:[0,1] op_sel_hi:[1,0]
	v_pk_add_f32 v[44:45], v[44:45], v[60:61] op_sel:[0,1] op_sel_hi:[1,0] neg_lo:[0,1] neg_hi:[0,1]
	v_pk_mul_f32 v[60:61], v[12:13], s[2:3] op_sel_hi:[1,0]
	v_pk_add_f32 v[4:5], v[4:5], v[40:41]
	v_pk_add_f32 v[44:45], v[44:45], v[60:61] op_sel:[0,1] op_sel_hi:[1,0] neg_lo:[0,1] neg_hi:[0,1]
	v_pk_add_f32 v[62:63], v[62:63], v[60:61] op_sel:[0,1] op_sel_hi:[1,0]
	v_pk_mul_f32 v[60:61], v[72:73], s[14:15] op_sel_hi:[1,0]
	v_pk_add_f32 v[40:41], v[68:69], v[76:77]
	v_pk_add_f32 v[66:67], v[46:47], v[60:61] op_sel:[0,1] op_sel_hi:[1,0] neg_lo:[0,1] neg_hi:[0,1]
	v_pk_add_f32 v[46:47], v[46:47], v[60:61] op_sel:[0,1] op_sel_hi:[1,0]
	v_pk_mul_f32 v[60:61], v[64:65], s[2:3] op_sel_hi:[1,0]
	v_pk_mul_f32 v[12:13], v[12:13], s[14:15] op_sel_hi:[1,0]
	v_pk_add_f32 v[46:47], v[46:47], v[60:61] op_sel:[0,1] op_sel_hi:[1,0] neg_lo:[0,1] neg_hi:[0,1]
	v_pk_add_f32 v[60:61], v[66:67], v[60:61] op_sel:[0,1] op_sel_hi:[1,0]
	v_mov_b32_e32 v67, v47
	v_mov_b32_e32 v66, v60
	v_pk_fma_f32 v[66:67], v[40:41], s[12:13], v[66:67] op_sel_hi:[1,0,1]
	v_mov_b32_e32 v47, v61
	v_pk_mul_f32 v[68:69], v[66:67], s[14:15] op_sel_hi:[1,0]
	v_pk_fma_f32 v[40:41], v[40:41], s[12:13], v[46:47] op_sel_hi:[1,0,1]
	v_pk_fma_f32 v[70:71], v[66:67], s[12:13], v[68:69] op_sel:[0,0,1] op_sel_hi:[1,0,0]
	v_pk_fma_f32 v[66:67], v[66:67], s[12:13], v[68:69] op_sel:[0,0,1] op_sel_hi:[1,0,0] neg_lo:[0,0,1] neg_hi:[0,0,1]
	v_pk_mul_f32 v[46:47], v[40:41], s[12:13] op_sel_hi:[1,0]
	v_mov_b32_e32 v71, v67
	v_pk_add_f32 v[66:67], v[0:1], v[12:13] op_sel:[0,1] op_sel_hi:[1,0] neg_lo:[0,1] neg_hi:[0,1]
	v_pk_add_f32 v[0:1], v[0:1], v[12:13] op_sel:[0,1] op_sel_hi:[1,0]
	v_pk_mul_f32 v[12:13], v[52:53], s[2:3] op_sel_hi:[1,0]
	v_pk_fma_f32 v[40:41], v[40:41], s[18:19], v[46:47] op_sel:[0,0,1] op_sel_hi:[1,1,0] neg_lo:[0,0,1] neg_hi:[0,0,1]
	v_pk_add_f32 v[0:1], v[0:1], v[12:13] op_sel:[0,1] op_sel_hi:[1,0] neg_lo:[0,1] neg_hi:[0,1]
	v_pk_add_f32 v[12:13], v[66:67], v[12:13] op_sel:[0,1] op_sel_hi:[1,0]
	v_mov_b32_e32 v47, v1
	v_mov_b32_e32 v46, v12
	;; [unrolled: 1-line block ×3, first 2 shown]
	v_mul_lo_u16_e32 v12, 10, v55
	v_lshl_add_u32 v60, v12, 3, v38
	v_pk_fma_f32 v[12:13], v[4:5], s[12:13], v[46:47] op_sel_hi:[1,0,1]
	v_pk_fma_f32 v[46:47], v[4:5], s[12:13], v[0:1] op_sel_hi:[1,0,1]
	v_mov_b32_e32 v4, v62
	v_mov_b32_e32 v5, v45
	v_pk_add_f32 v[6:7], v[6:7], v[42:43]
	v_mov_b32_e32 v45, v63
	v_pk_fma_f32 v[42:43], v[14:15], s[12:13], v[4:5] op_sel_hi:[1,0,1]
	v_pk_mul_f32 v[4:5], v[64:65], s[14:15] op_sel_hi:[1,0]
	v_pk_fma_f32 v[14:15], v[14:15], s[12:13], v[44:45] op_sel_hi:[1,0,1]
	v_pk_add_f32 v[44:45], v[2:3], v[4:5] op_sel:[0,1] op_sel_hi:[1,0]
	v_pk_mul_f32 v[52:53], v[72:73], s[2:3] op_sel_hi:[1,0]
	v_pk_add_f32 v[2:3], v[2:3], v[4:5] op_sel:[0,1] op_sel_hi:[1,0] neg_lo:[0,1] neg_hi:[0,1]
	v_pk_add_f32 v[44:45], v[52:53], v[44:45] op_sel:[1,0] op_sel_hi:[0,1]
	v_pk_add_f32 v[2:3], v[2:3], v[52:53] op_sel:[0,1] op_sel_hi:[1,0] neg_lo:[0,1] neg_hi:[0,1]
	v_pk_fma_f32 v[4:5], v[6:7], s[12:13], v[44:45] op_sel_hi:[1,0,1]
	v_pk_fma_f32 v[52:53], v[6:7], s[12:13], v[2:3] op_sel_hi:[1,0,1]
	v_mov_b32_e32 v3, v45
	v_pk_fma_f32 v[2:3], v[6:7], s[12:13], v[2:3] op_sel_hi:[1,0,1]
	s_mov_b32 s3, s16
	v_pk_mul_f32 v[6:7], v[2:3], s[16:17] op_sel_hi:[1,0]
	s_mov_b32 s17, s2
	v_pk_fma_f32 v[44:45], v[2:3], s[20:21], v[6:7] op_sel:[0,0,1] op_sel_hi:[1,1,0] neg_lo:[0,0,1] neg_hi:[0,0,1]
	v_pk_mul_f32 v[2:3], v[4:5], s[16:17] op_sel_hi:[0,1]
	v_pk_fma_f32 v[62:63], v[52:53], s[2:3], v[2:3] op_sel:[1,0,0]
	v_pk_fma_f32 v[2:3], v[52:53], s[2:3], v[2:3] op_sel:[1,0,0] neg_lo:[0,0,1] neg_hi:[0,0,1]
	v_pk_add_f32 v[0:1], v[8:9], v[10:11]
	v_mov_b32_e32 v63, v3
	v_pk_add_f32 v[2:3], v[42:43], v[62:63]
	v_pk_add_f32 v[52:53], v[14:15], v[44:45] op_sel:[1,0] op_sel_hi:[0,1]
	; wave barrier
	v_pk_add_f32 v[4:5], v[12:13], v[70:71]
	v_pk_add_f32 v[6:7], v[46:47], v[40:41] op_sel:[0,1] op_sel_hi:[1,0]
	ds_write_b128 v60, v[0:3]
	ds_write_b128 v60, v[4:7] offset:16
	v_pk_add_f32 v[2:3], v[8:9], v[10:11] neg_lo:[0,1] neg_hi:[0,1]
	v_mov_b32_e32 v0, v53
	v_mov_b32_e32 v1, v52
	ds_write_b128 v60, v[0:3] offset:32
	v_pk_add_f32 v[0:1], v[42:43], v[62:63] neg_lo:[0,1] neg_hi:[0,1]
	v_pk_add_f32 v[2:3], v[12:13], v[70:71] neg_lo:[0,1] neg_hi:[0,1]
	v_pk_add_f32 v[4:5], v[14:15], v[44:45] op_sel:[1,0] op_sel_hi:[0,1] neg_lo:[0,1] neg_hi:[0,1]
	ds_write_b128 v60, v[0:3] offset:48
	v_pk_add_f32 v[0:1], v[46:47], v[40:41] op_sel:[0,1] op_sel_hi:[1,0] neg_lo:[0,1] neg_hi:[0,1]
	v_mov_b32_e32 v2, v5
	v_mov_b32_e32 v3, v4
	ds_write_b128 v60, v[0:3] offset:64
	v_add_u32_e32 v0, -10, v55
	v_cndmask_b32_e32 v39, v0, v55, vcc
	v_mul_hi_i32_i24_e32 v1, 0x48, v39
	v_mul_i32_i24_e32 v0, 0x48, v39
	v_lshl_add_u64 v[40:41], s[10:11], 0, v[0:1]
	s_waitcnt lgkmcnt(0)
	; wave barrier
	s_waitcnt lgkmcnt(0)
	global_load_dwordx4 v[0:3], v[40:41], off
	global_load_dwordx4 v[4:7], v[40:41], off offset:16
	global_load_dwordx4 v[8:11], v[40:41], off offset:32
	;; [unrolled: 1-line block ×3, first 2 shown]
	global_load_dwordx2 v[52:53], v[40:41], off offset:64
	ds_read2_b64 v[40:43], v57 offset0:40 offset1:60
	ds_read2_b64 v[44:47], v57 offset0:80 offset1:100
	v_cmp_lt_u16_e32 vcc, 9, v55
	s_waitcnt vmcnt(4)
	v_mov_b32_e32 v48, v3
	s_waitcnt lgkmcnt(1)
	v_pk_mul_f32 v[62:63], v[40:41], v[48:49] op_sel_hi:[1,0]
	s_waitcnt vmcnt(3)
	v_mov_b32_e32 v50, v7
	v_pk_fma_f32 v[64:65], v[40:41], v[2:3], v[62:63] op_sel:[0,0,1] op_sel_hi:[1,1,0] neg_lo:[0,0,1] neg_hi:[0,0,1]
	v_pk_fma_f32 v[62:63], v[40:41], v[2:3], v[62:63] op_sel:[0,0,1] op_sel_hi:[1,0,0]
	v_pk_mul_f32 v[40:41], v[42:43], v[4:5] op_sel:[0,1]
	s_waitcnt vmcnt(2)
	v_mov_b32_e32 v54, v11
	v_pk_fma_f32 v[66:67], v[42:43], v[4:5], v[40:41] op_sel:[0,0,1] op_sel_hi:[1,1,0] neg_lo:[0,0,1] neg_hi:[0,0,1]
	v_pk_fma_f32 v[68:69], v[42:43], v[4:5], v[40:41] op_sel:[0,0,1] op_sel_hi:[1,0,0]
	s_waitcnt lgkmcnt(0)
	v_pk_mul_f32 v[40:41], v[44:45], v[50:51] op_sel_hi:[1,0]
	s_waitcnt vmcnt(1)
	v_mov_b32_e32 v56, v15
	v_pk_fma_f32 v[70:71], v[44:45], v[6:7], v[40:41] op_sel:[0,0,1] op_sel_hi:[1,1,0] neg_lo:[0,0,1] neg_hi:[0,0,1]
	v_pk_fma_f32 v[72:73], v[44:45], v[6:7], v[40:41] op_sel:[0,0,1] op_sel_hi:[1,0,0]
	ds_read2_b64 v[40:43], v57 offset0:120 offset1:140
	v_pk_mul_f32 v[44:45], v[46:47], v[8:9] op_sel:[0,1]
	v_mov_b32_e32 v65, v63
	v_pk_fma_f32 v[74:75], v[46:47], v[8:9], v[44:45] op_sel:[0,0,1] op_sel_hi:[1,1,0] neg_lo:[0,0,1] neg_hi:[0,0,1]
	v_pk_fma_f32 v[76:77], v[46:47], v[8:9], v[44:45] op_sel:[0,0,1] op_sel_hi:[1,0,0]
	s_waitcnt lgkmcnt(0)
	v_pk_mul_f32 v[44:45], v[40:41], v[54:55] op_sel_hi:[1,0]
	v_mov_b32_e32 v71, v73
	v_pk_fma_f32 v[78:79], v[40:41], v[10:11], v[44:45] op_sel:[0,0,1] op_sel_hi:[1,1,0] neg_lo:[0,0,1] neg_hi:[0,0,1]
	v_pk_fma_f32 v[80:81], v[40:41], v[10:11], v[44:45] op_sel:[0,0,1] op_sel_hi:[1,0,0]
	ds_read2_b64 v[44:47], v57 offset0:160 offset1:180
	v_pk_mul_f32 v[40:41], v[42:43], v[12:13] op_sel:[0,1]
	v_mov_b32_e32 v79, v81
	v_pk_fma_f32 v[82:83], v[42:43], v[12:13], v[40:41] op_sel:[0,0,1] op_sel_hi:[1,1,0] neg_lo:[0,0,1] neg_hi:[0,0,1]
	v_pk_fma_f32 v[84:85], v[42:43], v[12:13], v[40:41] op_sel:[0,0,1] op_sel_hi:[1,0,0]
	ds_read2_b64 v[40:43], v57 offset1:20
	s_waitcnt lgkmcnt(1)
	v_pk_mul_f32 v[86:87], v[44:45], v[56:57] op_sel_hi:[1,0]
	v_mov_b32_e32 v67, v69
	v_pk_fma_f32 v[88:89], v[44:45], v[14:15], v[86:87] op_sel:[0,0,1] op_sel_hi:[1,1,0] neg_lo:[0,0,1] neg_hi:[0,0,1]
	v_pk_fma_f32 v[44:45], v[44:45], v[14:15], v[86:87] op_sel:[0,0,1] op_sel_hi:[1,0,0]
	s_waitcnt vmcnt(0)
	v_pk_mul_f32 v[86:87], v[46:47], v[52:53] op_sel:[0,1]
	v_mov_b32_e32 v89, v45
	v_pk_fma_f32 v[90:91], v[46:47], v[52:53], v[86:87] op_sel:[0,0,1] op_sel_hi:[1,1,0] neg_lo:[0,0,1] neg_hi:[0,0,1]
	v_pk_fma_f32 v[46:47], v[46:47], v[52:53], v[86:87] op_sel:[0,0,1] op_sel_hi:[1,0,0]
	s_waitcnt lgkmcnt(0)
	v_pk_mul_f32 v[86:87], v[42:43], v[0:1] op_sel:[0,1]
	v_pk_add_f32 v[44:45], v[88:89], v[78:79] neg_lo:[0,1] neg_hi:[0,1]
	v_pk_fma_f32 v[92:93], v[42:43], v[0:1], v[86:87] op_sel:[0,0,1] op_sel_hi:[1,1,0] neg_lo:[0,0,1] neg_hi:[0,0,1]
	v_pk_fma_f32 v[42:43], v[42:43], v[0:1], v[86:87] op_sel:[0,0,1] op_sel_hi:[1,0,0]
	v_mov_b32_e32 v91, v47
	v_mov_b32_e32 v93, v43
	v_pk_add_f32 v[42:43], v[64:65], v[70:71] neg_lo:[0,1] neg_hi:[0,1]
	v_pk_add_f32 v[46:47], v[64:65], v[88:89] neg_lo:[0,1] neg_hi:[0,1]
	v_pk_add_f32 v[42:43], v[42:43], v[44:45]
	v_pk_add_f32 v[44:45], v[70:71], v[78:79]
	v_pk_mul_f32 v[62:63], v[46:47], s[14:15] op_sel_hi:[1,0]
	v_pk_fma_f32 v[44:45], v[44:45], 0.5, v[40:41] op_sel_hi:[1,0,1] neg_lo:[1,0,0] neg_hi:[1,0,0]
	v_mov_b32_e32 v75, v77
	v_pk_add_f32 v[68:69], v[44:45], v[62:63] op_sel:[0,1] op_sel_hi:[1,0]
	v_pk_add_f32 v[44:45], v[44:45], v[62:63] op_sel:[0,1] op_sel_hi:[1,0] neg_lo:[0,1] neg_hi:[0,1]
	v_pk_add_f32 v[62:63], v[70:71], v[78:79] neg_lo:[0,1] neg_hi:[0,1]
	v_mov_b32_e32 v83, v85
	v_pk_mul_f32 v[72:73], v[62:63], s[2:3] op_sel_hi:[1,0]
	v_pk_add_f32 v[76:77], v[90:91], v[82:83] neg_lo:[0,1] neg_hi:[0,1]
	v_pk_add_f32 v[44:45], v[44:45], v[72:73] op_sel:[0,1] op_sel_hi:[1,0] neg_lo:[0,1] neg_hi:[0,1]
	v_pk_add_f32 v[68:69], v[68:69], v[72:73] op_sel:[0,1] op_sel_hi:[1,0]
	v_pk_add_f32 v[72:73], v[66:67], v[74:75] neg_lo:[0,1] neg_hi:[0,1]
	v_pk_add_f32 v[80:81], v[66:67], v[90:91] neg_lo:[0,1] neg_hi:[0,1]
	v_pk_add_f32 v[72:73], v[72:73], v[76:77]
	v_pk_add_f32 v[76:77], v[74:75], v[82:83]
	v_pk_mul_f32 v[84:85], v[80:81], s[14:15] op_sel_hi:[1,0]
	v_pk_fma_f32 v[76:77], v[76:77], 0.5, v[92:93] op_sel_hi:[1,0,1] neg_lo:[1,0,0] neg_hi:[1,0,0]
	v_cndmask_b32_e32 v58, 0, v58, vcc
	v_pk_add_f32 v[86:87], v[76:77], v[84:85] op_sel:[0,1] op_sel_hi:[1,0]
	v_pk_add_f32 v[76:77], v[76:77], v[84:85] op_sel:[0,1] op_sel_hi:[1,0] neg_lo:[0,1] neg_hi:[0,1]
	v_pk_add_f32 v[84:85], v[74:75], v[82:83] neg_lo:[0,1] neg_hi:[0,1]
	v_add_u32_e32 v39, v39, v58
	v_pk_mul_f32 v[94:95], v[84:85], s[2:3] op_sel_hi:[1,0]
	v_lshl_add_u32 v58, v39, 3, v38
	v_pk_add_f32 v[76:77], v[76:77], v[94:95] op_sel:[0,1] op_sel_hi:[1,0] neg_lo:[0,1] neg_hi:[0,1]
	v_pk_add_f32 v[86:87], v[86:87], v[94:95] op_sel:[0,1] op_sel_hi:[1,0]
	v_mov_b32_e32 v95, v77
	v_mov_b32_e32 v94, v86
	v_pk_fma_f32 v[94:95], v[72:73], s[12:13], v[94:95] op_sel_hi:[1,0,1]
	v_pk_add_f32 v[38:39], v[40:41], v[64:65]
	v_pk_mul_f32 v[96:97], v[94:95], s[2:3] op_sel_hi:[1,0]
	v_pk_add_f32 v[38:39], v[38:39], v[70:71]
	v_pk_fma_f32 v[98:99], v[94:95], s[16:17], v[96:97] op_sel:[0,0,1] op_sel_hi:[1,0,0]
	v_pk_fma_f32 v[94:95], v[94:95], s[16:17], v[96:97] op_sel:[0,0,1] op_sel_hi:[1,0,0] neg_lo:[0,0,1] neg_hi:[0,0,1]
	v_pk_add_f32 v[38:39], v[38:39], v[78:79]
	v_mov_b32_e32 v99, v95
	v_pk_add_f32 v[94:95], v[92:93], v[66:67]
	v_mov_b32_e32 v96, v68
	;; [unrolled: 2-line block ×3, first 2 shown]
	v_pk_add_f32 v[94:95], v[94:95], v[82:83]
	v_pk_add_f32 v[38:39], v[38:39], v[88:89]
	v_pk_add_f32 v[94:95], v[94:95], v[90:91]
	v_pk_fma_f32 v[96:97], v[42:43], s[12:13], v[96:97] op_sel_hi:[1,0,1]
	v_pk_add_f32 v[100:101], v[38:39], v[94:95]
	v_pk_add_f32 v[102:103], v[96:97], v[98:99]
	s_waitcnt lgkmcnt(0)
	; wave barrier
	ds_write2_b64 v58, v[100:101], v[102:103] offset1:10
	v_pk_add_f32 v[100:101], v[64:65], v[88:89]
	v_pk_add_f32 v[64:65], v[70:71], v[64:65] neg_lo:[0,1] neg_hi:[0,1]
	v_pk_add_f32 v[70:71], v[78:79], v[88:89] neg_lo:[0,1] neg_hi:[0,1]
	v_pk_fma_f32 v[40:41], v[100:101], 0.5, v[40:41] op_sel_hi:[1,0,1] neg_lo:[1,0,0] neg_hi:[1,0,0]
	v_pk_add_f32 v[64:65], v[64:65], v[70:71]
	v_pk_add_f32 v[70:71], v[66:67], v[90:91]
	v_pk_add_f32 v[66:67], v[74:75], v[66:67] neg_lo:[0,1] neg_hi:[0,1]
	v_pk_add_f32 v[74:75], v[82:83], v[90:91] neg_lo:[0,1] neg_hi:[0,1]
	v_pk_mul_f32 v[62:63], v[62:63], s[14:15] op_sel_hi:[1,0]
	v_pk_fma_f32 v[70:71], v[70:71], 0.5, v[92:93] op_sel_hi:[1,0,1] neg_lo:[1,0,0] neg_hi:[1,0,0]
	v_pk_add_f32 v[66:67], v[66:67], v[74:75]
	v_pk_add_f32 v[74:75], v[40:41], v[62:63] op_sel:[0,1] op_sel_hi:[1,0] neg_lo:[0,1] neg_hi:[0,1]
	v_pk_add_f32 v[40:41], v[40:41], v[62:63] op_sel:[0,1] op_sel_hi:[1,0]
	v_pk_mul_f32 v[46:47], v[46:47], s[2:3] op_sel_hi:[1,0]
	v_pk_mul_f32 v[62:63], v[84:85], s[14:15] op_sel_hi:[1,0]
	v_pk_add_f32 v[40:41], v[40:41], v[46:47] op_sel:[0,1] op_sel_hi:[1,0] neg_lo:[0,1] neg_hi:[0,1]
	v_pk_add_f32 v[46:47], v[74:75], v[46:47] op_sel:[0,1] op_sel_hi:[1,0]
	v_pk_add_f32 v[74:75], v[70:71], v[62:63] op_sel:[0,1] op_sel_hi:[1,0] neg_lo:[0,1] neg_hi:[0,1]
	v_pk_add_f32 v[62:63], v[70:71], v[62:63] op_sel:[0,1] op_sel_hi:[1,0]
	v_pk_mul_f32 v[70:71], v[80:81], s[2:3] op_sel_hi:[1,0]
	v_mov_b32_e32 v45, v69
	v_pk_add_f32 v[62:63], v[62:63], v[70:71] op_sel:[0,1] op_sel_hi:[1,0] neg_lo:[0,1] neg_hi:[0,1]
	v_pk_add_f32 v[70:71], v[74:75], v[70:71] op_sel:[0,1] op_sel_hi:[1,0]
	v_mov_b32_e32 v75, v63
	v_mov_b32_e32 v74, v70
	v_pk_fma_f32 v[74:75], v[66:67], s[12:13], v[74:75] op_sel_hi:[1,0,1]
	v_mov_b32_e32 v63, v71
	v_pk_mul_f32 v[78:79], v[74:75], s[14:15] op_sel_hi:[1,0]
	v_pk_fma_f32 v[62:63], v[66:67], s[12:13], v[62:63] op_sel_hi:[1,0,1]
	v_pk_fma_f32 v[80:81], v[74:75], s[12:13], v[78:79] op_sel:[0,0,1] op_sel_hi:[1,0,0]
	v_pk_fma_f32 v[74:75], v[74:75], s[12:13], v[78:79] op_sel:[0,0,1] op_sel_hi:[1,0,0] neg_lo:[0,0,1] neg_hi:[0,0,1]
	v_mov_b32_e32 v77, v87
	v_mov_b32_e32 v81, v75
	;; [unrolled: 1-line block ×5, first 2 shown]
	v_pk_fma_f32 v[46:47], v[64:65], s[12:13], v[74:75] op_sel_hi:[1,0,1]
	v_pk_fma_f32 v[40:41], v[64:65], s[12:13], v[40:41] op_sel_hi:[1,0,1]
	v_pk_mul_f32 v[64:65], v[62:63], s[12:13] op_sel_hi:[1,0]
	v_pk_fma_f32 v[42:43], v[42:43], s[12:13], v[44:45] op_sel_hi:[1,0,1]
	v_pk_fma_f32 v[62:63], v[62:63], s[18:19], v[64:65] op_sel:[0,0,1] op_sel_hi:[1,1,0] neg_lo:[0,0,1] neg_hi:[0,0,1]
	v_pk_add_f32 v[64:65], v[46:47], v[80:81]
	v_pk_add_f32 v[66:67], v[40:41], v[62:63] op_sel:[0,1] op_sel_hi:[1,0]
	v_pk_fma_f32 v[44:45], v[72:73], s[12:13], v[76:77] op_sel_hi:[1,0,1]
	ds_write2_b64 v58, v[64:65], v[66:67] offset0:20 offset1:30
	v_pk_mul_f32 v[64:65], v[44:45], s[16:17] op_sel_hi:[1,0]
	v_pk_add_f32 v[38:39], v[38:39], v[94:95] neg_lo:[0,1] neg_hi:[0,1]
	v_pk_fma_f32 v[44:45], v[44:45], s[20:21], v[64:65] op_sel:[0,0,1] op_sel_hi:[1,1,0] neg_lo:[0,0,1] neg_hi:[0,0,1]
	v_pk_add_f32 v[46:47], v[46:47], v[80:81] neg_lo:[0,1] neg_hi:[0,1]
	v_pk_add_f32 v[64:65], v[42:43], v[44:45] op_sel:[0,1] op_sel_hi:[1,0]
	ds_write2_b64 v58, v[64:65], v[38:39] offset0:40 offset1:50
	v_pk_add_f32 v[38:39], v[96:97], v[98:99] neg_lo:[0,1] neg_hi:[0,1]
	ds_write2_b64 v58, v[38:39], v[46:47] offset0:60 offset1:70
	v_pk_add_f32 v[38:39], v[40:41], v[62:63] op_sel:[0,1] op_sel_hi:[1,0] neg_lo:[0,1] neg_hi:[0,1]
	v_pk_add_f32 v[40:41], v[42:43], v[44:45] op_sel:[0,1] op_sel_hi:[1,0] neg_lo:[0,1] neg_hi:[0,1]
	ds_write2_b64 v58, v[38:39], v[40:41] offset0:80 offset1:90
	s_waitcnt lgkmcnt(0)
	; wave barrier
	s_waitcnt lgkmcnt(0)
	global_load_dwordx2 v[42:43], v59, s[10:11] offset:880
	global_load_dwordx2 v[40:41], v59, s[10:11] offset:1040
	global_load_dwordx2 v[38:39], v59, s[10:11] offset:1200
	global_load_dwordx2 v[44:45], v59, s[10:11] offset:1360
	global_load_dwordx2 v[46:47], v59, s[10:11] offset:720
	ds_read2_b64 v[62:65], v57 offset0:120 offset1:140
	ds_read2_b64 v[66:69], v57 offset0:160 offset1:180
	s_mov_b32 s10, s12
	s_mov_b32 s11, s14
	;; [unrolled: 1-line block ×4, first 2 shown]
	s_waitcnt vmcnt(4) lgkmcnt(1)
	v_pk_mul_f32 v[70:71], v[62:63], v[42:43] op_sel:[0,1]
	s_nop 0
	v_pk_fma_f32 v[72:73], v[62:63], v[42:43], v[70:71] op_sel:[0,0,1] op_sel_hi:[1,1,0] neg_lo:[0,0,1] neg_hi:[0,0,1]
	v_pk_fma_f32 v[70:71], v[62:63], v[42:43], v[70:71] op_sel:[0,0,1] op_sel_hi:[1,0,0]
	s_waitcnt vmcnt(3)
	v_pk_mul_f32 v[62:63], v[64:65], v[40:41] op_sel:[0,1]
	s_waitcnt vmcnt(2) lgkmcnt(0)
	v_pk_mul_f32 v[78:79], v[66:67], v[38:39] op_sel:[0,1]
	v_pk_fma_f32 v[74:75], v[64:65], v[40:41], v[62:63] op_sel:[0,0,1] op_sel_hi:[1,1,0] neg_lo:[0,0,1] neg_hi:[0,0,1]
	v_pk_fma_f32 v[76:77], v[64:65], v[40:41], v[62:63] op_sel:[0,0,1] op_sel_hi:[1,0,0]
	ds_read2_b64 v[62:65], v57 offset0:80 offset1:100
	v_pk_fma_f32 v[80:81], v[66:67], v[38:39], v[78:79] op_sel:[0,0,1] op_sel_hi:[1,1,0] neg_lo:[0,0,1] neg_hi:[0,0,1]
	v_pk_fma_f32 v[78:79], v[66:67], v[38:39], v[78:79] op_sel:[0,0,1] op_sel_hi:[1,0,0]
	s_waitcnt vmcnt(1)
	v_pk_mul_f32 v[66:67], v[68:69], v[44:45] op_sel:[0,1]
	v_mov_b32_e32 v73, v71
	v_pk_fma_f32 v[82:83], v[68:69], v[44:45], v[66:67] op_sel:[0,0,1] op_sel_hi:[1,1,0] neg_lo:[0,0,1] neg_hi:[0,0,1]
	v_pk_fma_f32 v[84:85], v[68:69], v[44:45], v[66:67] op_sel:[0,0,1] op_sel_hi:[1,0,0]
	ds_read2_b64 v[66:69], v57 offset1:20
	s_waitcnt vmcnt(0) lgkmcnt(1)
	v_pk_mul_f32 v[86:87], v[64:65], v[46:47] op_sel:[0,1]
	v_mov_b32_e32 v75, v77
	v_pk_fma_f32 v[88:89], v[64:65], v[46:47], v[86:87] op_sel:[0,0,1] op_sel_hi:[1,1,0] neg_lo:[0,0,1] neg_hi:[0,0,1]
	v_pk_fma_f32 v[64:65], v[64:65], v[46:47], v[86:87] op_sel:[0,0,1] op_sel_hi:[1,0,0]
	s_waitcnt lgkmcnt(0)
	v_pk_add_f32 v[72:73], v[68:69], v[72:73] neg_lo:[0,1] neg_hi:[0,1]
	v_mov_b32_e32 v89, v65
	v_pk_add_f32 v[70:71], v[66:67], v[88:89] neg_lo:[0,1] neg_hi:[0,1]
	v_pk_fma_f32 v[68:69], v[68:69], 2.0, v[72:73] op_sel_hi:[1,0,1] neg_lo:[0,0,1] neg_hi:[0,0,1]
	v_pk_fma_f32 v[86:87], v[66:67], 2.0, v[70:71] op_sel_hi:[1,0,1] neg_lo:[0,0,1] neg_hi:[0,0,1]
	ds_read2_b64 v[64:67], v57 offset0:40 offset1:60
	ds_write_b64 v57, v[70:71] offset:800
	ds_write2_b64 v57, v[86:87], v[68:69] offset1:20
	v_mov_b32_e32 v81, v79
	v_mov_b32_e32 v83, v85
	s_waitcnt lgkmcnt(2)
	v_pk_add_f32 v[68:69], v[64:65], v[74:75] neg_lo:[0,1] neg_hi:[0,1]
	ds_write2_b64 v57, v[72:73], v[68:69] offset0:120 offset1:140
	v_pk_fma_f32 v[64:65], v[64:65], 2.0, v[68:69] op_sel_hi:[1,0,1] neg_lo:[0,0,1] neg_hi:[0,0,1]
	v_pk_add_f32 v[68:69], v[66:67], v[80:81] neg_lo:[0,1] neg_hi:[0,1]
	s_nop 0
	v_pk_fma_f32 v[66:67], v[66:67], 2.0, v[68:69] op_sel_hi:[1,0,1] neg_lo:[0,0,1] neg_hi:[0,0,1]
	ds_write2_b64 v57, v[64:65], v[66:67] offset0:40 offset1:60
	v_pk_add_f32 v[64:65], v[62:63], v[82:83] neg_lo:[0,1] neg_hi:[0,1]
	s_nop 0
	v_pk_fma_f32 v[62:63], v[62:63], 2.0, v[64:65] op_sel_hi:[1,0,1] neg_lo:[0,0,1] neg_hi:[0,0,1]
	ds_write2_b64 v57, v[68:69], v[64:65] offset0:160 offset1:180
	ds_write_b64 v57, v[62:63] offset:640
	s_waitcnt lgkmcnt(0)
	; wave barrier
	s_waitcnt lgkmcnt(0)
	global_load_dwordx2 v[66:67], v59, s[8:9] offset:1600
	s_add_u32 s8, s8, 0x640
	s_addc_u32 s9, s9, 0
	global_load_dwordx2 v[70:71], v59, s[8:9] offset:160
	global_load_dwordx2 v[72:73], v59, s[8:9] offset:320
	global_load_dwordx2 v[74:75], v59, s[8:9] offset:480
	global_load_dwordx2 v[76:77], v59, s[8:9] offset:640
	global_load_dwordx2 v[78:79], v59, s[8:9] offset:800
	global_load_dwordx2 v[80:81], v59, s[8:9] offset:960
	global_load_dwordx2 v[82:83], v59, s[8:9] offset:1120
	global_load_dwordx2 v[84:85], v59, s[8:9] offset:1280
	global_load_dwordx2 v[86:87], v59, s[8:9] offset:1440
	ds_read2_b64 v[62:65], v57 offset1:20
	s_mov_b32 s8, 0xbe9e377a
	s_mov_b32 s9, s14
	s_waitcnt vmcnt(8) lgkmcnt(0)
	v_mul_f32_e32 v91, v64, v71
	v_fmac_f32_e32 v91, v65, v70
	v_mul_f32_e32 v59, v63, v67
	v_mul_f32_e32 v89, v62, v67
	v_fma_f32 v88, v62, v66, -v59
	v_fmac_f32_e32 v89, v63, v66
	ds_read2_b64 v[66:69], v57 offset0:40 offset1:60
	v_mul_f32_e32 v59, v65, v71
	v_fma_f32 v90, v64, v70, -v59
	ds_read2_b64 v[62:65], v57 offset0:80 offset1:100
	s_waitcnt vmcnt(7) lgkmcnt(1)
	v_mul_f32_e32 v59, v67, v73
	v_fma_f32 v70, v66, v72, -v59
	v_mul_f32_e32 v71, v66, v73
	s_waitcnt vmcnt(6)
	v_mul_f32_e32 v59, v69, v75
	v_mul_f32_e32 v73, v68, v75
	v_fmac_f32_e32 v71, v67, v72
	v_fma_f32 v72, v68, v74, -v59
	v_fmac_f32_e32 v73, v69, v74
	s_waitcnt vmcnt(5) lgkmcnt(0)
	v_mul_f32_e32 v59, v63, v77
	ds_read2_b64 v[66:69], v57 offset0:120 offset1:140
	v_fma_f32 v74, v62, v76, -v59
	v_mul_f32_e32 v75, v62, v77
	s_waitcnt vmcnt(4)
	v_mul_f32_e32 v59, v65, v79
	v_mul_f32_e32 v77, v64, v79
	v_fmac_f32_e32 v75, v63, v76
	v_fma_f32 v76, v64, v78, -v59
	v_fmac_f32_e32 v77, v65, v78
	ds_read2_b64 v[62:65], v57 offset0:160 offset1:180
	s_waitcnt vmcnt(3) lgkmcnt(1)
	v_mul_f32_e32 v59, v67, v81
	v_mul_f32_e32 v79, v66, v81
	v_fma_f32 v78, v66, v80, -v59
	v_fmac_f32_e32 v79, v67, v80
	s_waitcnt vmcnt(2)
	v_mul_f32_e32 v59, v69, v83
	v_mul_f32_e32 v67, v68, v83
	v_fma_f32 v66, v68, v82, -v59
	v_fmac_f32_e32 v67, v69, v82
	s_waitcnt vmcnt(1) lgkmcnt(0)
	v_mul_f32_e32 v59, v63, v85
	v_mul_f32_e32 v69, v62, v85
	v_fma_f32 v68, v62, v84, -v59
	v_fmac_f32_e32 v69, v63, v84
	s_waitcnt vmcnt(0)
	v_mul_f32_e32 v59, v65, v87
	v_mul_f32_e32 v63, v64, v87
	v_fma_f32 v62, v64, v86, -v59
	v_fmac_f32_e32 v63, v65, v86
	ds_write2_b64 v57, v[88:89], v[90:91] offset1:20
	ds_write2_b64 v57, v[70:71], v[72:73] offset0:40 offset1:60
	ds_write2_b64 v57, v[74:75], v[76:77] offset0:80 offset1:100
	;; [unrolled: 1-line block ×4, first 2 shown]
	s_waitcnt lgkmcnt(0)
	; wave barrier
	s_waitcnt lgkmcnt(0)
	ds_read2_b64 v[62:65], v57 offset1:20
	ds_read2_b64 v[66:69], v57 offset0:40 offset1:60
	ds_read2_b64 v[70:73], v57 offset0:80 offset1:100
	s_waitcnt lgkmcnt(1)
	v_pk_add_f32 v[74:75], v[62:63], v[66:67]
	v_pk_add_f32 v[78:79], v[64:65], v[68:69]
	s_waitcnt lgkmcnt(0)
	v_pk_add_f32 v[82:83], v[74:75], v[70:71]
	ds_read2_b64 v[74:77], v57 offset0:120 offset1:140
	v_pk_add_f32 v[84:85], v[78:79], v[72:73]
	ds_read2_b64 v[78:81], v57 offset0:160 offset1:180
	v_mov_b32_e32 v86, v72
	v_mov_b32_e32 v88, v73
	s_waitcnt lgkmcnt(1)
	v_pk_add_f32 v[90:91], v[70:71], v[74:75]
	v_pk_add_f32 v[92:93], v[70:71], v[74:75] neg_lo:[0,1] neg_hi:[0,1]
	v_pk_add_f32 v[94:95], v[66:67], v[70:71] neg_lo:[0,1] neg_hi:[0,1]
	v_pk_add_f32 v[96:97], v[72:73], v[76:77]
	v_pk_add_f32 v[98:99], v[72:73], v[76:77] neg_lo:[0,1] neg_hi:[0,1]
	v_pk_add_f32 v[72:73], v[68:69], v[72:73] neg_lo:[0,1] neg_hi:[0,1]
	;; [unrolled: 1-line block ×3, first 2 shown]
	s_waitcnt lgkmcnt(0)
	v_pk_add_f32 v[100:101], v[68:69], v[80:81]
	v_mov_b32_e32 v102, v68
	v_mov_b32_e32 v104, v69
	v_pk_add_f32 v[106:107], v[66:67], v[78:79] neg_lo:[0,1] neg_hi:[0,1]
	v_pk_add_f32 v[108:109], v[68:69], v[80:81] neg_lo:[0,1] neg_hi:[0,1]
	v_pk_add_f32 v[110:111], v[66:67], v[78:79]
	v_pk_add_f32 v[66:67], v[82:83], v[74:75]
	;; [unrolled: 1-line block ×3, first 2 shown]
	v_pk_add_f32 v[82:83], v[78:79], v[74:75] neg_lo:[0,1] neg_hi:[0,1]
	v_pk_add_f32 v[74:75], v[74:75], v[78:79] neg_lo:[0,1] neg_hi:[0,1]
	v_pk_add_f32 v[78:79], v[66:67], v[78:79]
	v_pk_add_f32 v[84:85], v[68:69], v[80:81]
	v_pk_fma_f32 v[66:67], v[90:91], 0.5, v[62:63] op_sel_hi:[1,0,1] neg_lo:[1,0,0] neg_hi:[1,0,0]
	v_pk_mul_f32 v[68:69], v[106:107], s[14:15] op_sel_hi:[1,0]
	v_mov_b32_e32 v87, v76
	v_mov_b32_e32 v89, v77
	v_pk_add_f32 v[76:77], v[80:81], v[76:77] neg_lo:[0,1] neg_hi:[0,1]
	v_mov_b32_e32 v103, v80
	v_mov_b32_e32 v105, v81
	v_pk_add_f32 v[80:81], v[94:95], v[82:83]
	v_pk_add_f32 v[82:83], v[66:67], v[68:69] op_sel:[0,1] op_sel_hi:[1,0] neg_lo:[0,1] neg_hi:[0,1]
	v_pk_add_f32 v[66:67], v[66:67], v[68:69] op_sel:[0,1] op_sel_hi:[1,0]
	v_pk_mul_f32 v[68:69], v[92:93], s[2:3] op_sel_hi:[1,0]
	v_pk_add_f32 v[72:73], v[72:73], v[76:77]
	v_pk_add_f32 v[90:91], v[66:67], v[68:69] op_sel:[0,1] op_sel_hi:[1,0]
	v_pk_add_f32 v[82:83], v[82:83], v[68:69] op_sel:[0,1] op_sel_hi:[1,0] neg_lo:[0,1] neg_hi:[0,1]
	v_pk_fma_f32 v[66:67], v[96:97], 0.5, v[64:65] op_sel_hi:[1,0,1] neg_lo:[1,0,0] neg_hi:[1,0,0]
	v_pk_mul_f32 v[68:69], v[108:109], s[14:15] op_sel_hi:[1,0]
	v_fma_f32 v59, -0.5, v100, v64
	v_pk_add_f32 v[76:77], v[66:67], v[68:69] op_sel:[0,1] op_sel_hi:[1,0]
	v_pk_add_f32 v[66:67], v[66:67], v[68:69] op_sel:[0,1] op_sel_hi:[1,0] neg_lo:[0,1] neg_hi:[0,1]
	v_pk_mul_f32 v[68:69], v[98:99], s[2:3] op_sel_hi:[1,0]
	v_fma_f32 v61, -0.5, v101, v65
	v_pk_add_f32 v[76:77], v[68:69], v[76:77] op_sel:[1,0] op_sel_hi:[0,1]
	v_pk_add_f32 v[94:95], v[66:67], v[68:69] op_sel:[0,1] op_sel_hi:[1,0] neg_lo:[0,1] neg_hi:[0,1]
	v_mov_b32_e32 v66, v82
	v_mov_b32_e32 v67, v91
	v_pk_fma_f32 v[96:97], v[80:81], s[12:13], v[66:67] op_sel_hi:[1,0,1]
	v_pk_fma_f32 v[112:113], v[72:73], s[12:13], v[76:77] op_sel_hi:[1,0,1]
	s_mov_b32 s13, s2
	v_mov_b32_e32 v76, v94
	v_pk_fma_f32 v[66:67], v[72:73], s[12:13], v[76:77] op_sel_hi:[1,0,1]
	v_pk_add_f32 v[64:65], v[86:87], v[102:103] neg_lo:[0,1] neg_hi:[0,1]
	v_pk_mul_f32 v[68:69], v[66:67], s[2:3] op_sel_hi:[1,0]
	s_nop 0
	v_pk_fma_f32 v[76:77], v[66:67], s[16:17], v[68:69] op_sel:[0,0,1] op_sel_hi:[1,0,0] neg_lo:[0,0,1] neg_hi:[0,0,1]
	v_pk_fma_f32 v[66:67], v[66:67], s[16:17], v[68:69] op_sel:[0,0,1] op_sel_hi:[1,0,0]
	; wave barrier
	s_nop 0
	v_mov_b32_e32 v77, v67
	v_pk_add_f32 v[66:67], v[78:79], v[84:85]
	v_pk_add_f32 v[68:69], v[96:97], v[76:77]
	ds_write_b128 v60, v[66:69]
	v_mov_b32_e32 v66, v65
	v_pk_add_f32 v[64:65], v[64:65], v[66:67]
	v_pk_add_f32 v[66:67], v[88:89], v[104:105] neg_lo:[0,1] neg_hi:[0,1]
	v_mov_b32_e32 v65, v109
	v_mov_b32_e32 v68, v67
	v_pk_add_f32 v[66:67], v[66:67], v[68:69]
	v_pk_fma_f32 v[62:63], v[110:111], 0.5, v[62:63] op_sel_hi:[1,0,1] neg_lo:[1,0,0] neg_hi:[1,0,0]
	v_mov_b32_e32 v67, v108
	v_fmamk_f32 v82, v99, 0x3f737871, v59
	v_fmac_f32_e32 v59, 0xbf737871, v99
	v_pk_add_f32 v[68:69], v[70:71], v[74:75]
	v_pk_mul_f32 v[70:71], v[92:93], s[14:15] op_sel_hi:[1,0]
	v_pk_mul_f32 v[64:65], v[64:65], s[12:13]
	v_fmamk_f32 v86, v98, 0xbf737871, v61
	v_fmac_f32_e32 v61, 0x3f737871, v98
	v_pk_add_f32 v[74:75], v[62:63], v[70:71] op_sel:[0,1] op_sel_hi:[1,0]
	v_pk_add_f32 v[62:63], v[62:63], v[70:71] op_sel:[0,1] op_sel_hi:[1,0] neg_lo:[0,1] neg_hi:[0,1]
	v_pk_mul_f32 v[70:71], v[106:107], s[2:3] op_sel_hi:[1,0]
	v_sub_f32_e32 v82, v82, v65
	v_pk_mul_f32 v[66:67], v[66:67], s[12:13]
	v_add_f32_e32 v59, v65, v59
	v_pk_add_f32 v[62:63], v[62:63], v[70:71] op_sel:[0,1] op_sel_hi:[1,0]
	v_pk_add_f32 v[70:71], v[74:75], v[70:71] op_sel:[0,1] op_sel_hi:[1,0] neg_lo:[0,1] neg_hi:[0,1]
	v_add_f32_e32 v74, v67, v86
	v_add_f32_e32 v82, v64, v82
	;; [unrolled: 1-line block ×3, first 2 shown]
	v_sub_f32_e32 v59, v61, v67
	s_mov_b32 s15, s12
	v_add_f32_e32 v74, v66, v74
	v_add_f32_e32 v66, v66, v59
	v_pk_mul_f32 v[74:75], v[74:75], s[14:15] op_sel_hi:[0,1]
	v_pk_mul_f32 v[66:67], v[66:67], s[14:15] op_sel_hi:[0,1]
	v_pk_fma_f32 v[86:87], v[82:83], s[10:11], v[74:75] neg_lo:[0,0,1] neg_hi:[0,0,1]
	v_pk_fma_f32 v[74:75], v[82:83], s[10:11], v[74:75] op_sel_hi:[0,1,1]
	v_pk_fma_f32 v[66:67], v[64:65], s[8:9], v[66:67] op_sel_hi:[0,1,1] neg_lo:[0,0,1] neg_hi:[0,0,1]
	v_mov_b32_e32 v64, v70
	v_mov_b32_e32 v65, v63
	;; [unrolled: 1-line block ×4, first 2 shown]
	v_pk_fma_f32 v[70:71], v[68:69], s[12:13], v[64:65] op_sel_hi:[1,0,1]
	v_pk_fma_f32 v[68:69], v[68:69], s[12:13], v[62:63] op_sel_hi:[1,0,1]
	v_pk_add_f32 v[62:63], v[70:71], v[86:87]
	v_pk_add_f32 v[64:65], v[68:69], v[66:67]
	ds_write_b128 v60, v[62:65] offset:16
	v_pk_fma_f32 v[62:63], v[72:73], s[12:13], v[94:95] op_sel_hi:[1,0,1]
	v_mov_b32_e32 v91, v83
	v_pk_mul_f32 v[62:63], v[62:63], s[2:3] op_sel:[1,0]
	v_pk_fma_f32 v[72:73], v[80:81], s[12:13], v[90:91] op_sel_hi:[1,0,1]
	v_pk_fma_f32 v[74:75], v[112:113], s[18:19], v[62:63] op_sel_hi:[0,1,1] neg_lo:[0,0,1] neg_hi:[0,0,1]
	v_pk_add_f32 v[64:65], v[78:79], v[84:85] neg_lo:[0,1] neg_hi:[0,1]
	v_pk_add_f32 v[62:63], v[72:73], v[74:75]
	ds_write_b128 v60, v[62:65] offset:32
	v_pk_add_f32 v[62:63], v[96:97], v[76:77] neg_lo:[0,1] neg_hi:[0,1]
	v_pk_add_f32 v[64:65], v[70:71], v[86:87] neg_lo:[0,1] neg_hi:[0,1]
	ds_write_b128 v60, v[62:65] offset:48
	v_pk_add_f32 v[62:63], v[68:69], v[66:67] neg_lo:[0,1] neg_hi:[0,1]
	v_pk_add_f32 v[64:65], v[72:73], v[74:75] neg_lo:[0,1] neg_hi:[0,1]
	ds_write_b128 v60, v[62:65] offset:64
	s_waitcnt lgkmcnt(0)
	; wave barrier
	s_waitcnt lgkmcnt(0)
	ds_read2_b64 v[60:63], v57 offset0:160 offset1:180
	ds_read2_b64 v[64:67], v57 offset0:120 offset1:140
	s_waitcnt lgkmcnt(1)
	v_pk_mul_f32 v[68:69], v[52:53], v[62:63] op_sel:[1,0]
	s_nop 0
	v_pk_fma_f32 v[70:71], v[52:53], v[62:63], v[68:69] op_sel:[0,0,1] op_sel_hi:[1,1,0]
	v_pk_fma_f32 v[52:53], v[52:53], v[62:63], v[68:69] op_sel:[0,0,1] op_sel_hi:[0,1,0] neg_lo:[0,0,1] neg_hi:[0,0,1]
	v_pk_mul_f32 v[62:63], v[56:57], v[60:61] op_sel_hi:[0,1]
	v_pk_fma_f32 v[68:69], v[14:15], v[60:61], v[62:63] op_sel:[0,0,1] op_sel_hi:[1,1,0]
	v_pk_fma_f32 v[14:15], v[14:15], v[60:61], v[62:63] op_sel:[0,0,1] op_sel_hi:[0,1,0] neg_lo:[0,0,1] neg_hi:[0,0,1]
	ds_read2_b64 v[60:63], v57 offset0:80 offset1:100
	s_waitcnt lgkmcnt(1)
	v_pk_mul_f32 v[72:73], v[12:13], v[66:67] op_sel:[1,0]
	v_mov_b32_e32 v69, v15
	v_pk_fma_f32 v[74:75], v[12:13], v[66:67], v[72:73] op_sel:[0,0,1] op_sel_hi:[1,1,0]
	v_pk_fma_f32 v[66:67], v[12:13], v[66:67], v[72:73] op_sel:[0,0,1] op_sel_hi:[0,1,0] neg_lo:[0,0,1] neg_hi:[0,0,1]
	v_pk_mul_f32 v[12:13], v[54:55], v[64:65] op_sel_hi:[0,1]
	v_pk_fma_f32 v[72:73], v[10:11], v[64:65], v[12:13] op_sel:[0,0,1] op_sel_hi:[1,1,0]
	v_pk_fma_f32 v[64:65], v[10:11], v[64:65], v[12:13] op_sel:[0,0,1] op_sel_hi:[0,1,0] neg_lo:[0,0,1] neg_hi:[0,0,1]
	s_waitcnt lgkmcnt(0)
	v_pk_mul_f32 v[76:77], v[8:9], v[62:63] op_sel:[1,0]
	ds_read2_b64 v[10:13], v57 offset0:40 offset1:60
	v_pk_fma_f32 v[78:79], v[8:9], v[62:63], v[76:77] op_sel:[0,0,1] op_sel_hi:[1,1,0]
	v_pk_fma_f32 v[62:63], v[8:9], v[62:63], v[76:77] op_sel:[0,0,1] op_sel_hi:[0,1,0] neg_lo:[0,0,1] neg_hi:[0,0,1]
	v_pk_mul_f32 v[8:9], v[50:51], v[60:61] op_sel_hi:[0,1]
	v_pk_fma_f32 v[76:77], v[6:7], v[60:61], v[8:9] op_sel:[0,0,1] op_sel_hi:[1,1,0]
	v_pk_fma_f32 v[60:61], v[6:7], v[60:61], v[8:9] op_sel:[0,0,1] op_sel_hi:[0,1,0] neg_lo:[0,0,1] neg_hi:[0,0,1]
	ds_read2_b64 v[6:9], v57 offset1:20
	s_waitcnt lgkmcnt(1)
	v_pk_mul_f32 v[80:81], v[4:5], v[12:13] op_sel:[1,0]
	v_mov_b32_e32 v66, v63
	v_pk_fma_f32 v[82:83], v[4:5], v[12:13], v[80:81] op_sel:[0,0,1] op_sel_hi:[1,1,0]
	v_pk_fma_f32 v[4:5], v[4:5], v[12:13], v[80:81] op_sel:[0,0,1] op_sel_hi:[0,1,0] neg_lo:[0,0,1] neg_hi:[0,0,1]
	v_pk_mul_f32 v[12:13], v[48:49], v[10:11] op_sel_hi:[0,1]
	v_pk_fma_f32 v[80:81], v[2:3], v[10:11], v[12:13] op_sel:[0,0,1] op_sel_hi:[1,1,0]
	v_pk_fma_f32 v[2:3], v[2:3], v[10:11], v[12:13] op_sel:[0,0,1] op_sel_hi:[0,1,0] neg_lo:[0,0,1] neg_hi:[0,0,1]
	s_waitcnt lgkmcnt(0)
	v_pk_mul_f32 v[10:11], v[0:1], v[8:9] op_sel:[1,0]
	v_mov_b32_e32 v81, v3
	v_pk_fma_f32 v[12:13], v[0:1], v[8:9], v[10:11] op_sel:[0,0,1] op_sel_hi:[0,1,0]
	v_pk_fma_f32 v[0:1], v[0:1], v[8:9], v[10:11] op_sel:[0,0,1] op_sel_hi:[0,1,0] neg_lo:[0,0,1] neg_hi:[0,0,1]
	v_mov_b32_e32 v2, v82
	v_mov_b32_e32 v3, v70
	;; [unrolled: 1-line block ×4, first 2 shown]
	v_pk_add_f32 v[10:11], v[2:3], v[8:9] neg_lo:[0,1] neg_hi:[0,1]
	v_mov_b32_e32 v13, v1
	v_mov_b32_e32 v83, v5
	;; [unrolled: 1-line block ×6, first 2 shown]
	v_pk_add_f32 v[14:15], v[12:13], v[82:83]
	v_pk_add_f32 v[4:5], v[52:53], v[66:67] neg_lo:[0,1] neg_hi:[0,1]
	v_mov_b32_e32 v77, v61
	v_mov_b32_e32 v73, v65
	v_pk_add_f32 v[10:11], v[10:11], v[0:1]
	v_pk_add_f32 v[14:15], v[14:15], v[78:79]
	;; [unrolled: 1-line block ×3, first 2 shown]
	v_pk_add_f32 v[64:65], v[78:79], v[74:75] neg_lo:[0,1] neg_hi:[0,1]
	v_mov_b32_e32 v0, v5
	v_mov_b32_e32 v71, v53
	v_pk_add_f32 v[14:15], v[14:15], v[74:75]
	v_pk_add_f32 v[4:5], v[4:5], v[0:1]
	v_pk_add_f32 v[62:63], v[80:81], v[76:77] neg_lo:[0,1] neg_hi:[0,1]
	v_pk_add_f32 v[74:75], v[68:69], v[72:73] neg_lo:[0,1] neg_hi:[0,1]
	v_fma_f32 v48, -0.5, v60, v12
	v_fma_f32 v50, -0.5, v61, v1
	v_mov_b32_e32 v11, v65
	v_pk_add_f32 v[60:61], v[82:83], v[70:71] neg_lo:[0,1] neg_hi:[0,1]
	v_pk_add_f32 v[62:63], v[62:63], v[74:75]
	v_pk_add_f32 v[74:75], v[76:77], v[72:73]
	v_pk_add_f32 v[78:79], v[80:81], v[68:69] neg_lo:[0,1] neg_hi:[0,1]
	v_pk_mul_f32 v[10:11], v[10:11], s[12:13]
	v_fmamk_f32 v0, v61, 0xbf737871, v48
	v_mov_b32_e32 v5, v64
	v_pk_fma_f32 v[74:75], v[74:75], 0.5, v[6:7] op_sel_hi:[1,0,1] neg_lo:[1,0,0] neg_hi:[1,0,0]
	v_pk_mul_f32 v[84:85], v[78:79], s[14:15] op_sel_hi:[1,0]
	v_sub_f32_e32 v13, v0, v11
	v_pk_mul_f32 v[4:5], v[4:5], s[12:13]
	v_fmamk_f32 v0, v60, 0x3f737871, v50
	v_pk_add_f32 v[86:87], v[74:75], v[84:85] op_sel:[0,1] op_sel_hi:[1,0] neg_lo:[0,1] neg_hi:[0,1]
	v_pk_add_f32 v[74:75], v[74:75], v[84:85] op_sel:[0,1] op_sel_hi:[1,0]
	v_pk_add_f32 v[84:85], v[76:77], v[72:73] neg_lo:[0,1] neg_hi:[0,1]
	v_add_f32_e32 v0, v5, v0
	v_pk_mul_f32 v[88:89], v[84:85], s[2:3] op_sel_hi:[1,0]
	v_add_f32_e32 v0, v4, v0
	v_pk_add_f32 v[74:75], v[74:75], v[88:89] op_sel:[0,1] op_sel_hi:[1,0]
	v_pk_add_f32 v[86:87], v[86:87], v[88:89] op_sel:[0,1] op_sel_hi:[1,0] neg_lo:[0,1] neg_hi:[0,1]
	v_pk_mul_f32 v[88:89], v[0:1], s[2:3] op_sel_hi:[0,1]
	v_add_f32_e32 v0, v10, v13
	v_pk_add_f32 v[2:3], v[8:9], v[2:3] neg_lo:[0,1] neg_hi:[0,1]
	v_pk_fma_f32 v[90:91], v[0:1], s[16:17], v[88:89] neg_lo:[0,0,1] neg_hi:[0,0,1]
	v_pk_fma_f32 v[88:89], v[0:1], s[16:17], v[88:89] op_sel_hi:[0,1,1]
	v_pk_add_f32 v[14:15], v[14:15], v[70:71]
	v_pk_add_f32 v[70:71], v[82:83], v[70:71]
	v_mov_b32_e32 v0, v3
	v_pk_add_f32 v[8:9], v[66:67], v[52:53] neg_lo:[0,1] neg_hi:[0,1]
	v_pk_add_f32 v[2:3], v[2:3], v[0:1]
	v_fmac_f32_e32 v1, -0.5, v71
	v_mov_b32_e32 v0, v9
	v_mov_b32_e32 v54, v12
	v_pk_add_f32 v[8:9], v[8:9], v[0:1]
	v_mov_b32_e32 v91, v89
	v_pk_add_f32 v[88:89], v[6:7], v[80:81]
	v_fmac_f32_e32 v54, -0.5, v70
	v_mov_b32_e32 v3, v61
	v_mov_b32_e32 v9, v60
	v_pk_add_f32 v[88:89], v[88:89], v[76:77]
	v_fmamk_f32 v0, v65, 0x3f737871, v54
	v_fmamk_f32 v56, v64, 0xbf737871, v1
	v_pk_mul_f32 v[2:3], v[2:3], s[12:13]
	v_pk_mul_f32 v[8:9], v[8:9], s[12:13]
	v_pk_add_f32 v[88:89], v[88:89], v[72:73]
	v_mov_b32_e32 v92, v86
	v_mov_b32_e32 v93, v75
	v_sub_f32_e32 v59, v0, v3
	v_add_f32_e32 v0, v9, v56
	v_pk_add_f32 v[88:89], v[88:89], v[68:69]
	v_pk_fma_f32 v[92:93], v[62:63], s[12:13], v[92:93] op_sel_hi:[1,0,1]
	v_fmac_f32_e32 v1, 0x3f737871, v64
	v_pk_add_f32 v[12:13], v[76:77], v[80:81] neg_lo:[0,1] neg_hi:[0,1]
	v_pk_add_f32 v[52:53], v[72:73], v[68:69] neg_lo:[0,1] neg_hi:[0,1]
	v_add_f32_e32 v0, v8, v0
	v_pk_add_f32 v[94:95], v[88:89], v[14:15]
	v_pk_add_f32 v[96:97], v[92:93], v[90:91]
	;; [unrolled: 1-line block ×3, first 2 shown]
	v_pk_mul_f32 v[52:53], v[0:1], s[14:15] op_sel_hi:[0,1]
	v_add_f32_e32 v0, v2, v59
	s_waitcnt lgkmcnt(0)
	; wave barrier
	ds_write2_b64 v58, v[94:95], v[96:97] offset1:10
	v_pk_add_f32 v[94:95], v[80:81], v[68:69]
	v_fmac_f32_e32 v54, 0xbf737871, v65
	v_pk_fma_f32 v[64:65], v[0:1], s[10:11], v[52:53] neg_lo:[0,0,1] neg_hi:[0,0,1]
	v_pk_fma_f32 v[52:53], v[0:1], s[10:11], v[52:53] op_sel_hi:[0,1,1]
	v_pk_fma_f32 v[6:7], v[94:95], 0.5, v[6:7] op_sel_hi:[1,0,1] neg_lo:[1,0,0] neg_hi:[1,0,0]
	v_mov_b32_e32 v65, v53
	v_pk_mul_f32 v[52:53], v[84:85], s[14:15] op_sel_hi:[1,0]
	v_add_f32_e32 v0, v3, v54
	v_sub_f32_e32 v1, v1, v9
	v_pk_add_f32 v[66:67], v[6:7], v[52:53] op_sel:[0,1] op_sel_hi:[1,0]
	v_pk_add_f32 v[6:7], v[6:7], v[52:53] op_sel:[0,1] op_sel_hi:[1,0] neg_lo:[0,1] neg_hi:[0,1]
	v_pk_mul_f32 v[52:53], v[78:79], s[2:3] op_sel_hi:[1,0]
	v_add_f32_e32 v0, v2, v0
	v_add_f32_e32 v2, v8, v1
	v_pk_add_f32 v[6:7], v[6:7], v[52:53] op_sel:[0,1] op_sel_hi:[1,0]
	v_pk_add_f32 v[52:53], v[66:67], v[52:53] op_sel:[0,1] op_sel_hi:[1,0] neg_lo:[0,1] neg_hi:[0,1]
	v_pk_mul_f32 v[2:3], v[2:3], s[14:15] op_sel_hi:[0,1]
	v_pk_fma_f32 v[0:1], v[0:1], s[8:9], v[2:3] op_sel_hi:[0,1,1] neg_lo:[0,0,1] neg_hi:[0,0,1]
	v_mov_b32_e32 v2, v52
	v_mov_b32_e32 v3, v7
	;; [unrolled: 1-line block ×3, first 2 shown]
	v_pk_fma_f32 v[2:3], v[12:13], s[12:13], v[2:3] op_sel_hi:[1,0,1]
	v_pk_fma_f32 v[6:7], v[12:13], s[12:13], v[6:7] op_sel_hi:[1,0,1]
	v_fmac_f32_e32 v50, 0xbf737871, v60
	v_pk_add_f32 v[8:9], v[2:3], v[64:65]
	v_pk_add_f32 v[12:13], v[6:7], v[0:1]
	v_fmac_f32_e32 v48, 0x3f737871, v61
	v_sub_f32_e32 v5, v50, v5
	ds_write2_b64 v58, v[8:9], v[12:13] offset0:20 offset1:30
	v_add_f32_e32 v8, v11, v48
	v_add_f32_e32 v4, v4, v5
	;; [unrolled: 1-line block ×3, first 2 shown]
	v_pk_mul_f32 v[4:5], v[4:5], s[2:3] op_sel_hi:[0,1]
	v_mov_b32_e32 v75, v87
	v_pk_fma_f32 v[4:5], v[8:9], s[18:19], v[4:5] op_sel_hi:[0,1,1] neg_lo:[0,0,1] neg_hi:[0,0,1]
	v_pk_fma_f32 v[8:9], v[62:63], s[12:13], v[74:75] op_sel_hi:[1,0,1]
	v_pk_add_f32 v[12:13], v[88:89], v[14:15] neg_lo:[0,1] neg_hi:[0,1]
	v_pk_add_f32 v[10:11], v[8:9], v[4:5]
	ds_write2_b64 v58, v[10:11], v[12:13] offset0:40 offset1:50
	v_pk_add_f32 v[10:11], v[92:93], v[90:91] neg_lo:[0,1] neg_hi:[0,1]
	v_pk_add_f32 v[2:3], v[2:3], v[64:65] neg_lo:[0,1] neg_hi:[0,1]
	ds_write2_b64 v58, v[10:11], v[2:3] offset0:60 offset1:70
	v_pk_add_f32 v[0:1], v[6:7], v[0:1] neg_lo:[0,1] neg_hi:[0,1]
	v_pk_add_f32 v[2:3], v[8:9], v[4:5] neg_lo:[0,1] neg_hi:[0,1]
	ds_write2_b64 v58, v[0:1], v[2:3] offset0:80 offset1:90
	s_waitcnt lgkmcnt(0)
	; wave barrier
	s_waitcnt lgkmcnt(0)
	ds_read2_b64 v[0:3], v57 offset0:120 offset1:140
	ds_read2_b64 v[8:11], v57 offset0:160 offset1:180
	;; [unrolled: 1-line block ×3, first 2 shown]
	v_mov_b32_e32 v12, s0
	v_mov_b32_e32 v13, s1
	s_waitcnt lgkmcnt(2)
	v_pk_mul_f32 v[14:15], v[42:43], v[0:1] op_sel:[1,0]
	s_nop 0
	v_pk_fma_f32 v[52:53], v[42:43], v[0:1], v[14:15] op_sel:[0,0,1] op_sel_hi:[1,1,0]
	v_pk_fma_f32 v[14:15], v[42:43], v[0:1], v[14:15] op_sel:[0,0,1] op_sel_hi:[0,1,0] neg_lo:[0,0,1] neg_hi:[0,0,1]
	v_pk_mul_f32 v[0:1], v[40:41], v[2:3] op_sel:[1,0]
	v_mov_b32_e32 v53, v15
	v_pk_fma_f32 v[42:43], v[40:41], v[2:3], v[0:1] op_sel:[0,0,1] op_sel_hi:[1,1,0]
	v_pk_fma_f32 v[40:41], v[40:41], v[2:3], v[0:1] op_sel:[0,0,1] op_sel_hi:[0,1,0] neg_lo:[0,0,1] neg_hi:[0,0,1]
	s_waitcnt lgkmcnt(1)
	v_pk_mul_f32 v[0:1], v[38:39], v[8:9] op_sel:[1,0]
	v_mov_b32_e32 v43, v41
	v_pk_fma_f32 v[58:59], v[38:39], v[8:9], v[0:1] op_sel:[0,0,1] op_sel_hi:[1,1,0]
	v_pk_fma_f32 v[38:39], v[38:39], v[8:9], v[0:1] op_sel:[0,0,1] op_sel_hi:[0,1,0] neg_lo:[0,0,1] neg_hi:[0,0,1]
	v_pk_mul_f32 v[0:1], v[44:45], v[10:11] op_sel:[1,0]
	s_waitcnt lgkmcnt(0)
	v_pk_mul_f32 v[8:9], v[46:47], v[6:7] op_sel:[1,0]
	v_pk_fma_f32 v[60:61], v[44:45], v[10:11], v[0:1] op_sel:[0,0,1] op_sel_hi:[1,1,0]
	v_pk_fma_f32 v[10:11], v[44:45], v[10:11], v[0:1] op_sel:[0,0,1] op_sel_hi:[0,1,0] neg_lo:[0,0,1] neg_hi:[0,0,1]
	ds_read2_b64 v[0:3], v57 offset1:20
	v_pk_fma_f32 v[44:45], v[46:47], v[6:7], v[8:9] op_sel:[0,0,1] op_sel_hi:[1,1,0]
	v_pk_fma_f32 v[6:7], v[46:47], v[6:7], v[8:9] op_sel:[0,0,1] op_sel_hi:[0,1,0] neg_lo:[0,0,1] neg_hi:[0,0,1]
	v_mov_b32_e32 v45, v7
	ds_read2_b64 v[6:9], v57 offset0:40 offset1:60
	s_waitcnt lgkmcnt(1)
	v_pk_add_f32 v[44:45], v[0:1], v[44:45] neg_lo:[0,1] neg_hi:[0,1]
	v_pk_add_f32 v[14:15], v[2:3], v[52:53] neg_lo:[0,1] neg_hi:[0,1]
	v_mov_b32_e32 v59, v39
	v_mov_b32_e32 v61, v11
	v_pk_fma_f32 v[0:1], v[0:1], 2.0, v[44:45] op_sel_hi:[1,0,1] neg_lo:[0,0,1] neg_hi:[0,0,1]
	v_pk_fma_f32 v[2:3], v[2:3], 2.0, v[14:15] op_sel_hi:[1,0,1] neg_lo:[0,0,1] neg_hi:[0,0,1]
	s_waitcnt lgkmcnt(0)
	v_pk_add_f32 v[40:41], v[6:7], v[42:43] neg_lo:[0,1] neg_hi:[0,1]
	v_pk_add_f32 v[38:39], v[8:9], v[58:59] neg_lo:[0,1] neg_hi:[0,1]
	;; [unrolled: 1-line block ×3, first 2 shown]
	v_pk_fma_f32 v[6:7], v[6:7], 2.0, v[40:41] op_sel_hi:[1,0,1] neg_lo:[0,0,1] neg_hi:[0,0,1]
	v_pk_fma_f32 v[8:9], v[8:9], 2.0, v[38:39] op_sel_hi:[1,0,1] neg_lo:[0,0,1] neg_hi:[0,0,1]
	;; [unrolled: 1-line block ×3, first 2 shown]
	ds_write2_b64 v57, v[0:1], v[2:3] offset1:20
	ds_write2_b64 v57, v[14:15], v[40:41] offset0:120 offset1:140
	ds_write2_b64 v57, v[6:7], v[8:9] offset0:40 offset1:60
	;; [unrolled: 1-line block ×4, first 2 shown]
	s_waitcnt lgkmcnt(0)
	; wave barrier
	s_waitcnt lgkmcnt(0)
	ds_read2_b64 v[0:3], v57 offset1:20
	v_mad_u64_u32 v[46:47], s[0:1], s6, v18, 0
	v_mov_b32_e32 v4, v47
	v_mad_u64_u32 v[4:5], s[0:1], s7, v18, v[4:5]
	v_mov_b32_e32 v47, v4
	s_waitcnt lgkmcnt(0)
	v_mul_f32_e32 v4, v37, v1
	v_fmac_f32_e32 v4, v36, v0
	v_mul_f32_e32 v0, v37, v0
	s_mov_b32 s0, 0x47ae147b
	v_fma_f32 v0, v36, v1, -v0
	v_cvt_f64_f32_e32 v[4:5], v4
	s_mov_b32 s1, 0x3f747ae1
	v_cvt_f64_f32_e32 v[0:1], v0
	v_mul_f64 v[4:5], v[4:5], s[0:1]
	v_mul_f64 v[0:1], v[0:1], s[0:1]
	v_cvt_f32_f64_e32 v4, v[4:5]
	v_cvt_f32_f64_e32 v5, v[0:1]
	v_mad_u64_u32 v[0:1], s[2:3], s4, v55, 0
	v_mov_b32_e32 v6, v1
	v_mad_u64_u32 v[6:7], s[2:3], s5, v55, v[6:7]
	v_mov_b32_e32 v1, v6
	v_lshl_add_u64 v[6:7], v[46:47], 3, v[12:13]
	v_lshl_add_u64 v[8:9], v[0:1], 3, v[6:7]
	v_mul_f32_e32 v0, v35, v3
	v_fmac_f32_e32 v0, v34, v2
	v_cvt_f64_f32_e32 v[0:1], v0
	v_mul_f64 v[0:1], v[0:1], s[0:1]
	global_store_dwordx2 v[8:9], v[4:5], off
	v_cvt_f32_f64_e32 v4, v[0:1]
	v_mul_f32_e32 v0, v35, v2
	v_fma_f32 v0, v34, v3, -v0
	v_cvt_f64_f32_e32 v[0:1], v0
	v_mul_f64 v[0:1], v[0:1], s[0:1]
	v_cvt_f32_f64_e32 v5, v[0:1]
	ds_read2_b64 v[0:3], v57 offset0:40 offset1:60
	v_mad_u64_u32 v[8:9], s[2:3], s4, v19, v[8:9]
	s_mul_i32 s6, s5, 0xa0
	v_add_u32_e32 v9, s6, v9
	global_store_dwordx2 v[8:9], v[4:5], off
	s_waitcnt lgkmcnt(0)
	v_mul_f32_e32 v4, v29, v1
	v_fmac_f32_e32 v4, v28, v0
	v_mul_f32_e32 v0, v29, v0
	v_fma_f32 v0, v28, v1, -v0
	v_cvt_f64_f32_e32 v[4:5], v4
	v_cvt_f64_f32_e32 v[0:1], v0
	v_mul_f64 v[4:5], v[4:5], s[0:1]
	v_mul_f64 v[0:1], v[0:1], s[0:1]
	v_cvt_f32_f64_e32 v4, v[4:5]
	v_cvt_f32_f64_e32 v5, v[0:1]
	v_mul_f32_e32 v0, v27, v3
	v_fmac_f32_e32 v0, v26, v2
	v_mad_u64_u32 v[8:9], s[2:3], s4, v19, v[8:9]
	v_cvt_f64_f32_e32 v[0:1], v0
	v_add_u32_e32 v9, s6, v9
	v_mul_f64 v[0:1], v[0:1], s[0:1]
	global_store_dwordx2 v[8:9], v[4:5], off
	v_cvt_f32_f64_e32 v4, v[0:1]
	v_mul_f32_e32 v0, v27, v2
	v_fma_f32 v0, v26, v3, -v0
	v_cvt_f64_f32_e32 v[0:1], v0
	v_mul_f64 v[0:1], v[0:1], s[0:1]
	v_cvt_f32_f64_e32 v5, v[0:1]
	ds_read2_b64 v[0:3], v57 offset0:80 offset1:100
	v_mad_u64_u32 v[8:9], s[2:3], s4, v19, v[8:9]
	v_add_u32_e32 v9, s6, v9
	global_store_dwordx2 v[8:9], v[4:5], off
	s_waitcnt lgkmcnt(0)
	v_mul_f32_e32 v4, v33, v1
	v_fmac_f32_e32 v4, v32, v0
	v_mul_f32_e32 v0, v33, v0
	v_fma_f32 v0, v32, v1, -v0
	v_cvt_f64_f32_e32 v[4:5], v4
	v_cvt_f64_f32_e32 v[0:1], v0
	v_mul_f64 v[4:5], v[4:5], s[0:1]
	v_mul_f64 v[0:1], v[0:1], s[0:1]
	v_cvt_f32_f64_e32 v4, v[4:5]
	v_cvt_f32_f64_e32 v5, v[0:1]
	v_mul_f32_e32 v0, v31, v3
	v_fmac_f32_e32 v0, v30, v2
	v_mad_u64_u32 v[8:9], s[2:3], s4, v19, v[8:9]
	v_cvt_f64_f32_e32 v[0:1], v0
	v_add_u32_e32 v9, s6, v9
	v_mul_f64 v[0:1], v[0:1], s[0:1]
	global_store_dwordx2 v[8:9], v[4:5], off
	v_cvt_f32_f64_e32 v4, v[0:1]
	v_mul_f32_e32 v0, v31, v2
	v_fma_f32 v0, v30, v3, -v0
	v_cvt_f64_f32_e32 v[0:1], v0
	v_mul_f64 v[0:1], v[0:1], s[0:1]
	v_cvt_f32_f64_e32 v5, v[0:1]
	ds_read2_b64 v[0:3], v57 offset0:120 offset1:140
	v_mad_u64_u32 v[8:9], s[2:3], s4, v19, v[8:9]
	;; [unrolled: 28-line block ×3, first 2 shown]
	v_add_u32_e32 v9, s6, v9
	global_store_dwordx2 v[8:9], v[4:5], off
	s_waitcnt lgkmcnt(0)
	v_mul_f32_e32 v4, v23, v1
	v_fmac_f32_e32 v4, v22, v0
	v_mul_f32_e32 v0, v23, v0
	v_fma_f32 v0, v22, v1, -v0
	v_cvt_f64_f32_e32 v[4:5], v4
	v_cvt_f64_f32_e32 v[0:1], v0
	v_mul_f64 v[4:5], v[4:5], s[0:1]
	v_mul_f64 v[0:1], v[0:1], s[0:1]
	v_cvt_f32_f64_e32 v4, v[4:5]
	v_cvt_f32_f64_e32 v5, v[0:1]
	v_mad_u64_u32 v[0:1], s[2:3], s4, v51, 0
	v_mov_b32_e32 v10, v1
	v_mad_u64_u32 v[10:11], s[2:3], s5, v51, v[10:11]
	v_mov_b32_e32 v1, v10
	v_lshl_add_u64 v[0:1], v[0:1], 3, v[6:7]
	global_store_dwordx2 v[0:1], v[4:5], off
	v_mul_f32_e32 v0, v17, v3
	v_fmac_f32_e32 v0, v16, v2
	v_cvt_f64_f32_e32 v[0:1], v0
	v_mul_f64 v[0:1], v[0:1], s[0:1]
	v_cvt_f32_f64_e32 v0, v[0:1]
	v_mul_f32_e32 v1, v17, v2
	v_fma_f32 v1, v16, v3, -v1
	v_cvt_f64_f32_e32 v[2:3], v1
	v_mul_f64 v[2:3], v[2:3], s[0:1]
	v_cvt_f32_f64_e32 v1, v[2:3]
	v_mad_u64_u32 v[2:3], s[0:1], s4, v49, v[8:9]
	s_mul_i32 s0, s5, 0x140
	s_nop 0
	v_add_u32_e32 v3, s0, v3
	global_store_dwordx2 v[2:3], v[0:1], off
.LBB0_2:
	s_endpgm
	.section	.rodata,"a",@progbits
	.p2align	6, 0x0
	.amdhsa_kernel bluestein_single_fwd_len200_dim1_sp_op_CI_CI
		.amdhsa_group_segment_fixed_size 4800
		.amdhsa_private_segment_fixed_size 0
		.amdhsa_kernarg_size 104
		.amdhsa_user_sgpr_count 2
		.amdhsa_user_sgpr_dispatch_ptr 0
		.amdhsa_user_sgpr_queue_ptr 0
		.amdhsa_user_sgpr_kernarg_segment_ptr 1
		.amdhsa_user_sgpr_dispatch_id 0
		.amdhsa_user_sgpr_kernarg_preload_length 0
		.amdhsa_user_sgpr_kernarg_preload_offset 0
		.amdhsa_user_sgpr_private_segment_size 0
		.amdhsa_uses_dynamic_stack 0
		.amdhsa_enable_private_segment 0
		.amdhsa_system_sgpr_workgroup_id_x 1
		.amdhsa_system_sgpr_workgroup_id_y 0
		.amdhsa_system_sgpr_workgroup_id_z 0
		.amdhsa_system_sgpr_workgroup_info 0
		.amdhsa_system_vgpr_workitem_id 0
		.amdhsa_next_free_vgpr 114
		.amdhsa_next_free_sgpr 22
		.amdhsa_accum_offset 116
		.amdhsa_reserve_vcc 1
		.amdhsa_float_round_mode_32 0
		.amdhsa_float_round_mode_16_64 0
		.amdhsa_float_denorm_mode_32 3
		.amdhsa_float_denorm_mode_16_64 3
		.amdhsa_dx10_clamp 1
		.amdhsa_ieee_mode 1
		.amdhsa_fp16_overflow 0
		.amdhsa_tg_split 0
		.amdhsa_exception_fp_ieee_invalid_op 0
		.amdhsa_exception_fp_denorm_src 0
		.amdhsa_exception_fp_ieee_div_zero 0
		.amdhsa_exception_fp_ieee_overflow 0
		.amdhsa_exception_fp_ieee_underflow 0
		.amdhsa_exception_fp_ieee_inexact 0
		.amdhsa_exception_int_div_zero 0
	.end_amdhsa_kernel
	.text
.Lfunc_end0:
	.size	bluestein_single_fwd_len200_dim1_sp_op_CI_CI, .Lfunc_end0-bluestein_single_fwd_len200_dim1_sp_op_CI_CI
                                        ; -- End function
	.section	.AMDGPU.csdata,"",@progbits
; Kernel info:
; codeLenInByte = 7168
; NumSgprs: 28
; NumVgprs: 114
; NumAgprs: 0
; TotalNumVgprs: 114
; ScratchSize: 0
; MemoryBound: 0
; FloatMode: 240
; IeeeMode: 1
; LDSByteSize: 4800 bytes/workgroup (compile time only)
; SGPRBlocks: 3
; VGPRBlocks: 14
; NumSGPRsForWavesPerEU: 28
; NumVGPRsForWavesPerEU: 114
; AccumOffset: 116
; Occupancy: 4
; WaveLimiterHint : 1
; COMPUTE_PGM_RSRC2:SCRATCH_EN: 0
; COMPUTE_PGM_RSRC2:USER_SGPR: 2
; COMPUTE_PGM_RSRC2:TRAP_HANDLER: 0
; COMPUTE_PGM_RSRC2:TGID_X_EN: 1
; COMPUTE_PGM_RSRC2:TGID_Y_EN: 0
; COMPUTE_PGM_RSRC2:TGID_Z_EN: 0
; COMPUTE_PGM_RSRC2:TIDIG_COMP_CNT: 0
; COMPUTE_PGM_RSRC3_GFX90A:ACCUM_OFFSET: 28
; COMPUTE_PGM_RSRC3_GFX90A:TG_SPLIT: 0
	.text
	.p2alignl 6, 3212836864
	.fill 256, 4, 3212836864
	.type	__hip_cuid_d7461bede4dbe1f,@object ; @__hip_cuid_d7461bede4dbe1f
	.section	.bss,"aw",@nobits
	.globl	__hip_cuid_d7461bede4dbe1f
__hip_cuid_d7461bede4dbe1f:
	.byte	0                               ; 0x0
	.size	__hip_cuid_d7461bede4dbe1f, 1

	.ident	"AMD clang version 19.0.0git (https://github.com/RadeonOpenCompute/llvm-project roc-6.4.0 25133 c7fe45cf4b819c5991fe208aaa96edf142730f1d)"
	.section	".note.GNU-stack","",@progbits
	.addrsig
	.addrsig_sym __hip_cuid_d7461bede4dbe1f
	.amdgpu_metadata
---
amdhsa.kernels:
  - .agpr_count:     0
    .args:
      - .actual_access:  read_only
        .address_space:  global
        .offset:         0
        .size:           8
        .value_kind:     global_buffer
      - .actual_access:  read_only
        .address_space:  global
        .offset:         8
        .size:           8
        .value_kind:     global_buffer
      - .actual_access:  read_only
        .address_space:  global
        .offset:         16
        .size:           8
        .value_kind:     global_buffer
      - .actual_access:  read_only
        .address_space:  global
        .offset:         24
        .size:           8
        .value_kind:     global_buffer
      - .actual_access:  read_only
        .address_space:  global
        .offset:         32
        .size:           8
        .value_kind:     global_buffer
      - .offset:         40
        .size:           8
        .value_kind:     by_value
      - .address_space:  global
        .offset:         48
        .size:           8
        .value_kind:     global_buffer
      - .address_space:  global
        .offset:         56
        .size:           8
        .value_kind:     global_buffer
      - .address_space:  global
        .offset:         64
        .size:           8
        .value_kind:     global_buffer
      - .address_space:  global
        .offset:         72
        .size:           8
        .value_kind:     global_buffer
      - .offset:         80
        .size:           4
        .value_kind:     by_value
      - .address_space:  global
        .offset:         88
        .size:           8
        .value_kind:     global_buffer
      - .address_space:  global
        .offset:         96
        .size:           8
        .value_kind:     global_buffer
    .group_segment_fixed_size: 4800
    .kernarg_segment_align: 8
    .kernarg_segment_size: 104
    .language:       OpenCL C
    .language_version:
      - 2
      - 0
    .max_flat_workgroup_size: 60
    .name:           bluestein_single_fwd_len200_dim1_sp_op_CI_CI
    .private_segment_fixed_size: 0
    .sgpr_count:     28
    .sgpr_spill_count: 0
    .symbol:         bluestein_single_fwd_len200_dim1_sp_op_CI_CI.kd
    .uniform_work_group_size: 1
    .uses_dynamic_stack: false
    .vgpr_count:     114
    .vgpr_spill_count: 0
    .wavefront_size: 64
amdhsa.target:   amdgcn-amd-amdhsa--gfx950
amdhsa.version:
  - 1
  - 2
...

	.end_amdgpu_metadata
